;; amdgpu-corpus repo=triton-lang/triton kind=triton arch=gfx950 opt=O3 lang=triton
	.amdgcn_target "amdgcn-amd-amdhsa--gfx950"
	.amdhsa_code_object_version 5
	.text
	.globl	grouped_matmul_kernel           ; -- Begin function grouped_matmul_kernel
	.p2align	8
	.type	grouped_matmul_kernel,@function
grouped_matmul_kernel:                  ; @grouped_matmul_kernel
.Lfunc_begin0:
	.cfi_sections .debug_frame
	.cfi_startproc
; %bb.20:
	.file	1 "/root/src/amdgpu-assembly/repos/triton-lang__triton-aot" "grouped_gemm.py"
	.loc	1 8 0 prologue_end              ; grouped_gemm.py:8:0
	s_load_dwordx2 s[2:3], s[0:1], 0x0
	s_load_dwordx8 s[4:11], s[0:1], 0x8
	s_load_dwordx4 s[12:15], s[0:1], 0x28
	s_waitcnt lgkmcnt(0)
	s_branch .LBB0_0
	.loc	1 0 0 is_stmt 0                 ; :0:0
.Ltmp0:
	.p2align	8
; %bb.21:
.LBB0_0:
.Ltmp1:
	.loc	1 30 19 is_stmt 1               ; grouped_gemm.py:30:19
	s_cmp_lt_i32 s12, 1
	.loc	1 66 28                         ; grouped_gemm.py:66:28
	v_readfirstlane_b32 s0, v0
	.loc	1 30 19                         ; grouped_gemm.py:30:19
	s_cbranch_scc1 .LBB0_19
; %bb.1:                                ; %.lr.ph45
	.loc	1 77 29                         ; grouped_gemm.py:77:29
	s_and_b32 s1, s0, 0x1c0
	.loc	1 54 63                         ; grouped_gemm.py:54:63
	v_and_or_b32 v1, v0, 63, s1
	s_and_b32 s1, s0, 0x100
	v_and_b32_e32 v3, 31, v0
	s_lshr_b32 s13, s1, 3
	s_and_b32 s0, s0, 0xc0
	v_and_b32_e32 v4, 32, v0
	v_or_b32_e32 v50, s13, v3
	s_lshr_b32 s13, s0, 1
	v_lshrrev_b32_e32 v5, 2, v4
	v_or_b32_e32 v53, s13, v5
	v_lshlrev_b32_e32 v5, 4, v1
	s_movk_i32 s13, 0xf0
	v_lshrrev_b32_e32 v35, 2, v1
	.loc	1 58 36                         ; grouped_gemm.py:58:36
	v_lshrrev_b32_e32 v54, 4, v1
	v_bitop3_b32 v6, v5, v0, 48 bitop3:0x78
	v_bitop3_b32 v1, v5, v1, s13 bitop3:0x78
	v_lshlrev_b32_e32 v5, 2, v0
	v_lshlrev_b32_e32 v3, 6, v3
	v_and_b32_e32 v5, 48, v5
	v_lshrrev_b32_e32 v4, 1, v4
	.loc	1 54 63                         ; grouped_gemm.py:54:63
	v_lshlrev_b32_e32 v2, 3, v0
	s_lshl_b32 s1, s1, 3
	v_or_b32_e32 v7, v3, v5
	v_bitop3_b32 v3, v3, v4, v5 bitop3:0x36
	v_and_b32_e32 v5, 44, v0
	v_and_b32_e32 v52, 0x78, v2
	.loc	1 57 61                         ; grouped_gemm.py:57:61
	v_and_b32_e32 v2, 24, v2
	v_bitop3_b32 v4, s1, v7, v4 bitop3:0xf6
	v_lshlrev_b32_e32 v7, 2, v5
	v_lshlrev_b32_e32 v8, 1, v0
	v_lshl_or_b32 v5, v5, 6, v2
	v_bitop3_b32 v7, v8, v7, 32 bitop3:0x6c
	v_xor_b32_e32 v5, v7, v5
	v_xor_b32_e32 v5, s0, v5
	v_mov_b32_e32 v37, 0
	v_bitop3_b32 v3, s1, 32, v3 bitop3:0x36
	v_xor_b32_e32 v7, 64, v5
	.loc	1 30 19                         ; grouped_gemm.py:30:19
	v_and_b32_e32 v0, 3, v0
	v_mov_b32_e32 v8, 0x80
	s_mov_b32 s21, 0
	.loc	1 54 63                         ; grouped_gemm.py:54:63
	v_or_b32_e32 v51, 64, v50
	.loc	1 30 19                         ; grouped_gemm.py:30:19
	v_lshl_or_b32 v38, v0, 4, v8
	v_mov_b32_e32 v39, v37
	v_add_u32_e32 v55, 0, v6
	v_add_u32_e32 v56, 0, v1
	;; [unrolled: 1-line block ×6, first 2 shown]
	v_lshlrev_b32_e32 v36, 1, v2
	s_mov_b32 s13, 0
	s_mov_b32 s20, s21
	s_branch .LBB0_3
.LBB0_2:                                ; %._crit_edge42
                                        ;   in Loop: Header=BB0_3 Depth=1
	.loc	1 30 19                         ; grouped_gemm.py:30:19
	s_add_i32 s20, s20, 1
	s_cmp_lg_u32 s20, s12
	s_mov_b32 s13, s17
	s_cbranch_scc0 .LBB0_19
.LBB0_3:                                ; =>This Loop Header: Depth=1
                                        ;     Child Loop BB0_6 Depth 2
                                        ;       Child Loop BB0_15 Depth 3
	.loc	1 32 44                         ; grouped_gemm.py:32:44
	s_mul_i32 s0, s20, 3
	.loc	1 32 40 is_stmt 0               ; grouped_gemm.py:32:40
	s_ashr_i32 s1, s0, 31
	s_lshl_b64 s[0:1], s[0:1], 2
	s_add_u32 s14, s8, s0
	s_addc_u32 s15, s9, s1
	.loc	1 32 21                         ; grouped_gemm.py:32:21
	global_load_dwordx2 v[0:1], v37, s[14:15]
	s_waitcnt vmcnt(0)
	v_readfirstlane_b32 s17, v0
	.loc	1 33 21 is_stmt 1               ; grouped_gemm.py:33:21
	v_readfirstlane_b32 s18, v1
.Ltmp2:
	.file	2 "/root/.local/lib/python3.13/site-packages/triton/language" "standard.py"
	.loc	2 43 17                         ; standard.py:43:17 @[ grouped_gemm.py:35:34 ]
	s_addk_i32 s17, 0x7f
.Ltmp3:
	.loc	2 43 17 is_stmt 0               ; standard.py:43:17 @[ grouped_gemm.py:36:34 ]
	s_addk_i32 s18, 0x7f
.Ltmp4:
	.loc	2 43 30                         ; standard.py:43:30 @[ grouped_gemm.py:35:34 ]
	s_ashr_i32 s19, s17, 31
.Ltmp5:
	.loc	2 43 30                         ; standard.py:43:30 @[ grouped_gemm.py:36:34 ]
	s_ashr_i32 s22, s18, 31
.Ltmp6:
	.loc	2 43 30                         ; standard.py:43:30 @[ grouped_gemm.py:35:34 ]
	s_lshr_b32 s19, s19, 25
.Ltmp7:
	.loc	2 43 30                         ; standard.py:43:30 @[ grouped_gemm.py:36:34 ]
	s_lshr_b32 s22, s22, 25
.Ltmp8:
	.loc	2 43 30                         ; standard.py:43:30 @[ grouped_gemm.py:35:34 ]
	s_add_i32 s17, s17, s19
.Ltmp9:
	.loc	2 43 30                         ; standard.py:43:30 @[ grouped_gemm.py:36:34 ]
	s_add_i32 s18, s18, s22
.Ltmp10:
	.loc	2 43 30                         ; standard.py:43:30 @[ grouped_gemm.py:35:34 ]
	s_ashr_i32 s17, s17, 7
.Ltmp11:
	.loc	2 43 30                         ; standard.py:43:30 @[ grouped_gemm.py:36:34 ]
	s_ashr_i32 s30, s18, 7
.Ltmp12:
	.loc	1 37 34 is_stmt 1               ; grouped_gemm.py:37:34
	s_mul_i32 s17, s30, s17
	.loc	1 39 78                         ; grouped_gemm.py:39:78
	s_add_i32 s17, s17, s13
	.loc	1 39 27 is_stmt 0               ; grouped_gemm.py:39:27
	s_cmp_lt_i32 s16, s13
	s_cselect_b64 s[18:19], -1, 0
	.loc	1 39 59                         ; grouped_gemm.py:39:59
	s_cmp_ge_i32 s16, s17
	s_cselect_b64 s[22:23], -1, 0
	.loc	1 39 48                         ; grouped_gemm.py:39:48
	s_or_b64 s[18:19], s[18:19], s[22:23]
	s_and_b64 vcc, exec, s[18:19]
	s_cbranch_vccnz .LBB0_2
; %bb.4:                                ; %.lr.ph41
                                        ;   in Loop: Header=BB0_3 Depth=1
	.loc	1 34 21 is_stmt 1               ; grouped_gemm.py:34:21
	global_load_dword v0, v37, s[14:15] offset:8
	.loc	1 42 34                         ; grouped_gemm.py:42:34
	s_add_u32 s22, s10, s0
	s_addc_u32 s23, s11, s1
	.loc	1 45 43                         ; grouped_gemm.py:45:43
	s_lshl_b64 s[0:1], s[20:21], 3
	s_add_u32 s24, s2, s0
	s_addc_u32 s25, s3, s1
	.loc	1 46 43                         ; grouped_gemm.py:46:43
	s_add_u32 s26, s4, s0
	s_addc_u32 s27, s5, s1
	.loc	1 47 43                         ; grouped_gemm.py:47:43
	s_add_u32 s28, s6, s0
	s_addc_u32 s29, s7, s1
.Ltmp13:
	.loc	2 43 17                         ; standard.py:43:17 @[ grouped_gemm.py:60:42 ]
	s_waitcnt vmcnt(0)
	v_readfirstlane_b32 s0, v0
	s_add_i32 s14, s0, 31
	.loc	2 43 30 is_stmt 0               ; standard.py:43:30 @[ grouped_gemm.py:60:42 ]
	s_ashr_i32 s0, s14, 31
	s_lshr_b32 s0, s0, 27
	s_add_i32 s0, s14, s0
	s_ashr_i32 s18, s0, 5
	s_cmp_gt_i32 s14, 31
	s_cselect_b64 s[0:1], -1, 0
	s_cmp_gt_i32 s14, 63
	s_cselect_b64 s[14:15], -1, 0
.Ltmp14:
	.loc	1 39 48 is_stmt 1               ; grouped_gemm.py:39:48
	s_max_i32 s35, s18, 2
	s_cmp_lg_u32 s35, 2
	s_cselect_b64 s[36:37], -1, 0
	s_abs_i32 s31, s30
	v_cvt_f32_u32_e32 v0, s31
	v_cndmask_b32_e64 v1, 0, 1, s[0:1]
	v_cmp_ne_u32_e64 s[0:1], 1, v1
	v_cndmask_b32_e64 v1, 0, 1, s[14:15]
	v_rcp_iflag_f32_e32 v0, v0
	s_sub_i32 s14, 0, s31
	v_cmp_ne_u32_e64 s[18:19], 1, v1
	v_cndmask_b32_e64 v1, 0, 1, s[36:37]
	v_mul_f32_e32 v0, 0x4f7ffffe, v0
	v_cvt_u32_f32_e32 v0, v0
	s_ashr_i32 s33, s30, 31
	.loc	1 60 31                         ; grouped_gemm.py:60:31
	s_lshl_b32 s34, s30, 7
	.loc	1 39 48                         ; grouped_gemm.py:39:48
	s_add_i32 s35, s35, -2
	v_readfirstlane_b32 s15, v0
	s_mul_i32 s14, s14, s15
	s_mul_hi_u32 s14, s15, s14
	s_add_i32 s36, s15, s14
	v_cmp_ne_u32_e64 s[14:15], 1, v1
	s_branch .LBB0_6
.LBB0_5:                                ; %._crit_edge._crit_edge
                                        ;   in Loop: Header=BB0_6 Depth=2
	.loc	1 80 24                         ; grouped_gemm.py:80:24
	s_addk_i32 s16, 0x54
	.loc	1 54 50                         ; grouped_gemm.py:54:50
	v_or_b32_e32 v33, s37, v50
	.loc	1 39 27                         ; grouped_gemm.py:39:27
	s_cmp_ge_i32 s16, s13
	.loc	1 54 50                         ; grouped_gemm.py:54:50
	v_or_b32_e32 v42, s37, v51
	.loc	1 55 50                         ; grouped_gemm.py:55:50
	v_or_b32_e32 v32, s38, v53
	.loc	1 70 31                         ; grouped_gemm.py:70:31
	v_cvt_pk_f16_f32 v0, v0, v1
	v_cvt_pk_f16_f32 v1, v2, v3
	;; [unrolled: 1-line block ×4, first 2 shown]
	s_nop 1
	v_cvt_pk_f16_f32 v8, v16, v17
	.loc	1 74 35                         ; grouped_gemm.py:74:35
	v_mul_lo_u32 v16, v33, v34
	.loc	1 39 27                         ; grouped_gemm.py:39:27
	s_cselect_b64 s[38:39], -1, 0
	.loc	1 39 59 is_stmt 0               ; grouped_gemm.py:39:59
	s_cmp_lt_i32 s16, s17
	.loc	1 70 31 is_stmt 1               ; grouped_gemm.py:70:31
	v_cvt_pk_f16_f32 v9, v18, v19
	.loc	1 74 35                         ; grouped_gemm.py:74:35
	v_mul_lo_u32 v18, v42, v34
	.loc	1 74 29 is_stmt 0               ; grouped_gemm.py:74:29
	v_ashrrev_i32_e32 v17, 31, v16
	.loc	1 74 54                         ; grouped_gemm.py:74:54
	v_ashrrev_i32_e32 v33, 31, v32
	.loc	1 39 59 is_stmt 1               ; grouped_gemm.py:39:59
	s_cselect_b64 s[40:41], -1, 0
	.loc	1 70 31                         ; grouped_gemm.py:70:31
	v_cvt_pk_f16_f32 v3, v6, v7
	v_cvt_pk_f16_f32 v5, v10, v11
	;; [unrolled: 1-line block ×3, first 2 shown]
	.loc	1 74 29                         ; grouped_gemm.py:74:29
	s_waitcnt vmcnt(0)
	v_lshl_add_u64 v[16:17], v[16:17], 1, v[40:41]
	v_ashrrev_i32_e32 v19, 31, v18
	.loc	1 74 54 is_stmt 0               ; grouped_gemm.py:74:54
	v_lshlrev_b64 v[20:21], 1, v[32:33]
	.loc	1 39 48 is_stmt 1               ; grouped_gemm.py:39:48
	s_and_b64 s[38:39], s[38:39], s[40:41]
	.loc	1 70 31                         ; grouped_gemm.py:70:31
	v_cvt_pk_f16_f32 v6, v12, v13
	v_cvt_pk_f16_f32 v7, v14, v15
	;; [unrolled: 1-line block ×7, first 2 shown]
	.loc	1 74 29                         ; grouped_gemm.py:74:29
	v_lshl_add_u64 v[18:19], v[18:19], 1, v[40:41]
	.loc	1 74 54 is_stmt 0               ; grouped_gemm.py:74:54
	v_lshl_add_u64 v[16:17], v[16:17], 0, v[20:21]
	.loc	1 70 31 is_stmt 1               ; grouped_gemm.py:70:31
	v_permlane32_swap_b32_e32 v0, v2
	v_permlane32_swap_b32_e32 v1, v3
	.loc	1 39 48                         ; grouped_gemm.py:39:48
	s_and_b64 vcc, exec, s[38:39]
	.loc	1 74 54                         ; grouped_gemm.py:74:54
	v_lshl_add_u64 v[18:19], v[18:19], 0, v[20:21]
	.loc	1 70 31                         ; grouped_gemm.py:70:31
	v_permlane32_swap_b32_e32 v4, v6
	v_permlane32_swap_b32_e32 v5, v7
	v_permlane32_swap_b32_e32 v8, v10
	v_permlane32_swap_b32_e32 v9, v11
	v_permlane32_swap_b32_e32 v12, v14
	v_permlane32_swap_b32_e32 v13, v15
	.loc	1 77 29                         ; grouped_gemm.py:77:29
	global_store_dwordx4 v[16:17], v[0:3], off
	global_store_dwordx4 v[16:17], v[4:7], off offset:32
	global_store_dwordx4 v[18:19], v[8:11], off
	global_store_dwordx4 v[18:19], v[12:15], off offset:32
	.loc	1 39 48                         ; grouped_gemm.py:39:48
	s_cbranch_vccz .LBB0_2
.LBB0_6:                                ;   Parent Loop BB0_3 Depth=1
                                        ; =>  This Loop Header: Depth=2
                                        ;       Child Loop BB0_15 Depth 3
	.loc	1 42 26                         ; grouped_gemm.py:42:26
	global_load_dwordx3 v[32:34], v37, s[22:23]
	.loc	1 45 28                         ; grouped_gemm.py:45:28
	global_load_dwordx2 v[46:47], v37, s[24:25]
	.loc	1 49 42                         ; grouped_gemm.py:49:42
	s_sub_i32 s40, s16, s13
	.loc	1 50 45                         ; grouped_gemm.py:50:45
	s_ashr_i32 s37, s40, 31
	s_abs_i32 s38, s40
	s_xor_b32 s39, s37, s33
	s_mul_hi_u32 s37, s38, s36
	s_mul_i32 s41, s37, s31
	s_sub_i32 s38, s38, s41
	s_add_i32 s42, s37, 1
	s_sub_i32 s41, s38, s31
	s_cmp_ge_u32 s38, s31
	s_cselect_b32 s37, s42, s37
	s_cselect_b32 s38, s41, s38
	s_add_i32 s41, s37, 1
	s_cmp_ge_u32 s38, s31
	s_cselect_b32 s37, s41, s37
	s_xor_b32 s41, s37, s39
	s_sub_i32 s42, s41, s39
	.loc	1 54 35                         ; grouped_gemm.py:54:35
	s_lshl_b32 s37, s42, 7
	.loc	1 54 50 is_stmt 0               ; grouped_gemm.py:54:50
	v_or_b32_e32 v0, s37, v35
	.loc	1 65 28 is_stmt 1               ; grouped_gemm.py:65:28
	s_and_b64 vcc, exec, s[0:1]
	.loc	1 57 48                         ; grouped_gemm.py:57:48
	s_waitcnt vmcnt(1)
	v_mul_lo_u32 v0, v0, v32
	.loc	1 57 29 is_stmt 0               ; grouped_gemm.py:57:29
	v_ashrrev_i32_e32 v1, 31, v0
	s_waitcnt vmcnt(0)
	v_lshl_add_u64 v[0:1], v[0:1], 1, v[46:47]
	.loc	1 57 54                         ; grouped_gemm.py:57:54
	v_lshl_add_u64 v[8:9], v[0:1], 0, v[36:37]
	.loc	1 65 28 is_stmt 1               ; grouped_gemm.py:65:28
	s_cbranch_vccnz .LBB0_8
; %bb.7:                                ;   in Loop: Header=BB0_6 Depth=2
	global_load_dwordx4 v[0:3], v[8:9], off
	s_branch .LBB0_9
.LBB0_8:                                ;   in Loop: Header=BB0_6 Depth=2
	.loc	1 0 28 is_stmt 0                ; grouped_gemm.py:0:28
	v_mov_b32_e32 v0, 0
	v_mov_b32_e32 v1, v0
	;; [unrolled: 1-line block ×4, first 2 shown]
.LBB0_9:                                ;   in Loop: Header=BB0_6 Depth=2
	global_load_dwordx2 v[42:43], v37, s[26:27]
	.loc	1 51 44 is_stmt 1               ; grouped_gemm.py:51:44
	s_mul_i32 s38, s42, s30
	s_sub_i32 s38, s40, s38
	.loc	1 58 47                         ; grouped_gemm.py:58:47
	v_mul_lo_u32 v44, v33, v54
	.loc	1 55 35                         ; grouped_gemm.py:55:35
	s_lshl_b32 s38, s38, 7
	.loc	1 58 29                         ; grouped_gemm.py:58:29
	v_ashrrev_i32_e32 v45, 31, v44
	.loc	1 55 50                         ; grouped_gemm.py:55:50
	v_or_b32_e32 v4, s38, v52
	.loc	1 58 53                         ; grouped_gemm.py:58:53
	v_ashrrev_i32_e32 v5, 31, v4
	.loc	1 66 28                         ; grouped_gemm.py:66:28
	s_and_b64 vcc, exec, s[0:1]
	.loc	1 58 29                         ; grouped_gemm.py:58:29
	s_waitcnt vmcnt(0)
	v_lshl_add_u64 v[6:7], v[44:45], 1, v[42:43]
	.loc	1 58 53 is_stmt 0               ; grouped_gemm.py:58:53
	v_lshl_add_u64 v[16:17], v[4:5], 1, v[6:7]
	.loc	1 66 28 is_stmt 1               ; grouped_gemm.py:66:28
	s_cbranch_vccnz .LBB0_11
; %bb.10:                               ;   in Loop: Header=BB0_6 Depth=2
	global_load_dwordx4 v[4:7], v[16:17], off
	s_branch .LBB0_12
.LBB0_11:                               ;   in Loop: Header=BB0_6 Depth=2
	.loc	1 0 28 is_stmt 0                ; grouped_gemm.py:0:28
	v_mov_b32_e32 v4, 0
	v_mov_b32_e32 v5, v4
	;; [unrolled: 1-line block ×4, first 2 shown]
.LBB0_12:                               ;   in Loop: Header=BB0_6 Depth=2
	global_load_dwordx2 v[40:41], v37, s[28:29]
	.loc	1 60 31 is_stmt 1               ; grouped_gemm.py:60:31
	s_and_b64 vcc, exec, s[18:19]
	.loc	1 65 28                         ; grouped_gemm.py:65:28
	s_waitcnt lgkmcnt(0)
	s_barrier
	ds_write_b128 v55, v[0:3]
	.loc	1 66 28                         ; grouped_gemm.py:66:28
	s_waitcnt vmcnt(1)
	ds_write_b128 v56, v[4:7] offset:8192
	.loc	1 60 31                         ; grouped_gemm.py:60:31
	s_cbranch_vccnz .LBB0_16
; %bb.13:                               ; %.lr.ph
                                        ;   in Loop: Header=BB0_6 Depth=2
	.loc	1 65 28                         ; grouped_gemm.py:65:28
	global_load_dwordx4 v[64:67], v[8:9], off offset:64
	s_waitcnt lgkmcnt(0)
	s_barrier
	.loc	1 66 28                         ; grouped_gemm.py:66:28
	ds_read_b64_tr_b16 v[68:69], v59 offset:8192
	ds_read_b64_tr_b16 v[70:71], v60 offset:9216
	.loc	1 65 28                         ; grouped_gemm.py:65:28
	ds_read_b128 v[18:21], v57
	ds_read_b128 v[72:75], v57 offset:4096
	.loc	1 66 28                         ; grouped_gemm.py:66:28
	ds_read_b64_tr_b16 v[76:77], v59 offset:12288
	ds_read_b64_tr_b16 v[78:79], v60 offset:13312
	.loc	1 67 41                         ; grouped_gemm.py:67:41
	s_waitcnt lgkmcnt(3)
	v_mfma_f32_32x32x16_f16 v[0:15], v[68:71], v[18:21], 0
	.loc	1 65 28                         ; grouped_gemm.py:65:28
	ds_read_b128 v[18:21], v58
	ds_read_b128 v[80:83], v58 offset:4096
	.loc	1 69 41                         ; grouped_gemm.py:69:41
	v_lshlrev_b32_e32 v48, 5, v33
	v_ashrrev_i32_e32 v49, 31, v48
	.loc	1 69 26 is_stmt 0               ; grouped_gemm.py:69:26
	v_lshl_add_u64 v[62:63], v[48:49], 1, v[16:17]
	.loc	1 60 31 is_stmt 1               ; grouped_gemm.py:60:31
	s_and_b64 vcc, exec, s[14:15]
	.loc	1 67 41                         ; grouped_gemm.py:67:41
	s_waitcnt lgkmcnt(1)
	v_mfma_f32_32x32x16_f16 v[0:15], v[76:79], v[18:21], v[0:15]
	v_mfma_f32_32x32x16_f16 v[16:31], v[68:71], v[72:75], 0
	.loc	1 66 28                         ; grouped_gemm.py:66:28
	global_load_dwordx4 v[68:71], v[62:63], off
	.loc	1 65 28                         ; grouped_gemm.py:65:28
	s_waitcnt lgkmcnt(0)
	s_barrier
	s_waitcnt vmcnt(1)
	ds_write_b128 v55, v[64:67]
	.loc	1 67 41                         ; grouped_gemm.py:67:41
	v_mfma_f32_32x32x16_f16 v[16:31], v[76:79], v[80:83], v[16:31]
	.loc	1 66 28                         ; grouped_gemm.py:66:28
	s_waitcnt vmcnt(0)
	ds_write_b128 v56, v[68:71] offset:8192
	.loc	1 60 31                         ; grouped_gemm.py:60:31
	s_cbranch_vccnz .LBB0_17
; %bb.14:                               ; %.peel.next.preheader
                                        ;   in Loop: Header=BB0_6 Depth=2
	v_lshl_or_b32 v33, s40, 7, v52
	s_mul_i32 s40, s34, s42
	v_subrev_u32_e32 v62, s40, v33
	v_lshl_or_b32 v33, s41, 7, v35
	s_lshl_b32 s39, s39, 7
	v_lshlrev_b64 v[44:45], 1, v[44:45]
	v_subrev_u32_e32 v33, s39, v33
	v_lshl_add_u64 v[44:45], v[48:49], 2, v[44:45]
	v_ashrrev_i32_e32 v63, 31, v62
	v_mul_lo_u32 v32, v32, v33
	v_lshl_add_u64 v[44:45], v[62:63], 1, v[44:45]
	v_lshl_add_u64 v[46:47], v[46:47], 0, v[38:39]
	v_ashrrev_i32_e32 v33, 31, v32
	v_lshl_add_u64 v[42:43], v[42:43], 0, v[44:45]
	v_lshlrev_b64 v[44:45], 1, v[48:49]
	v_lshl_add_u64 v[32:33], v[32:33], 1, v[46:47]
	s_mov_b32 s39, s35
.LBB0_15:                               ; %.peel.next
                                        ;   Parent Loop BB0_3 Depth=1
                                        ;     Parent Loop BB0_6 Depth=2
                                        ; =>    This Inner Loop Header: Depth=3
	.loc	1 65 28                         ; grouped_gemm.py:65:28
	global_load_dwordx4 v[46:49], v[32:33], off
	s_waitcnt lgkmcnt(0)
	s_barrier
	.loc	1 66 28                         ; grouped_gemm.py:66:28
	ds_read_b64_tr_b16 v[62:63], v59 offset:8192
	ds_read_b64_tr_b16 v[64:65], v60 offset:9216
	.loc	1 65 28                         ; grouped_gemm.py:65:28
	ds_read_b128 v[66:69], v57
	ds_read_b128 v[70:73], v57 offset:4096
	.loc	1 66 28                         ; grouped_gemm.py:66:28
	ds_read_b64_tr_b16 v[74:75], v59 offset:12288
	ds_read_b64_tr_b16 v[76:77], v60 offset:13312
	.loc	1 67 41                         ; grouped_gemm.py:67:41
	s_waitcnt lgkmcnt(3)
	v_mfma_f32_32x32x16_f16 v[0:15], v[62:65], v[66:69], v[0:15]
	.loc	1 60 31                         ; grouped_gemm.py:60:31
	s_add_i32 s39, s39, -1
	v_lshl_add_u64 v[32:33], v[32:33], 0, 64
	s_cmp_lg_u32 s39, 0
	.loc	1 67 41                         ; grouped_gemm.py:67:41
	s_waitcnt lgkmcnt(2)
	v_mfma_f32_32x32x16_f16 v[16:31], v[62:65], v[70:73], v[16:31]
	.loc	1 65 28                         ; grouped_gemm.py:65:28
	ds_read_b128 v[62:65], v58
	ds_read_b128 v[66:69], v58 offset:4096
	.loc	1 67 41                         ; grouped_gemm.py:67:41
	s_waitcnt lgkmcnt(1)
	v_mfma_f32_32x32x16_f16 v[0:15], v[74:77], v[62:65], v[0:15]
	.loc	1 66 28                         ; grouped_gemm.py:66:28
	global_load_dwordx4 v[62:65], v[42:43], off
	.loc	1 60 31                         ; grouped_gemm.py:60:31
	v_lshl_add_u64 v[42:43], v[42:43], 0, v[44:45]
	.loc	1 65 28                         ; grouped_gemm.py:65:28
	s_waitcnt lgkmcnt(0)
	s_barrier
	s_waitcnt vmcnt(1)
	ds_write_b128 v55, v[46:49]
	.loc	1 66 28                         ; grouped_gemm.py:66:28
	s_waitcnt vmcnt(0)
	ds_write_b128 v56, v[62:65] offset:8192
	.loc	1 67 41                         ; grouped_gemm.py:67:41
	v_mfma_f32_32x32x16_f16 v[16:31], v[74:77], v[66:69], v[16:31]
	.loc	1 60 31                         ; grouped_gemm.py:60:31
	s_cbranch_scc1 .LBB0_15
	s_branch .LBB0_17
.LBB0_16:                               ;   in Loop: Header=BB0_6 Depth=2
	.loc	1 0 31 is_stmt 0                ; grouped_gemm.py:0:31
	v_mov_b32_e32 v0, 0
	v_mov_b32_e32 v1, v0
	;; [unrolled: 1-line block ×32, first 2 shown]
.LBB0_17:                               ; %._crit_edge
                                        ;   in Loop: Header=BB0_6 Depth=2
	.loc	1 67 41 is_stmt 1               ; grouped_gemm.py:67:41
	s_and_b64 vcc, exec, s[0:1]
	.loc	1 65 28                         ; grouped_gemm.py:65:28
	s_waitcnt lgkmcnt(0)
	s_barrier
	.loc	1 67 41                         ; grouped_gemm.py:67:41
	s_cbranch_vccnz .LBB0_5
; %bb.18:                               ;   in Loop: Header=BB0_6 Depth=2
	.loc	1 0 0 is_stmt 0                 ; grouped_gemm.py:0
	ds_read_b64_tr_b16 v[42:43], v59 offset:8192
	ds_read_b64_tr_b16 v[44:45], v60 offset:9216
	.loc	1 65 28 is_stmt 1               ; grouped_gemm.py:65:28
	ds_read_b128 v[46:49], v57
	.loc	1 0 0 is_stmt 0                 ; grouped_gemm.py:0
	ds_read_b64_tr_b16 v[62:63], v59 offset:12288
	ds_read_b64_tr_b16 v[64:65], v60 offset:13312
	.loc	1 67 41 is_stmt 1               ; grouped_gemm.py:67:41
	s_waitcnt lgkmcnt(2)
	v_mfma_f32_32x32x16_f16 v[0:15], v[42:45], v[46:49], v[0:15]
	.loc	1 65 28                         ; grouped_gemm.py:65:28
	ds_read_b128 v[46:49], v58
	.loc	1 67 41                         ; grouped_gemm.py:67:41
	s_waitcnt lgkmcnt(0)
	v_mfma_f32_32x32x16_f16 v[0:15], v[62:65], v[46:49], v[0:15]
	.loc	1 65 28                         ; grouped_gemm.py:65:28
	ds_read_b128 v[46:49], v57 offset:4096
	.loc	1 67 41                         ; grouped_gemm.py:67:41
	s_waitcnt lgkmcnt(0)
	v_mfma_f32_32x32x16_f16 v[16:31], v[42:45], v[46:49], v[16:31]
	.loc	1 65 28                         ; grouped_gemm.py:65:28
	ds_read_b128 v[42:45], v58 offset:4096
	.loc	1 67 41                         ; grouped_gemm.py:67:41
	s_waitcnt lgkmcnt(0)
	v_mfma_f32_32x32x16_f16 v[16:31], v[62:65], v[42:45], v[16:31]
	s_branch .LBB0_5
.LBB0_19:                               ; %._crit_edge46
	.loc	1 30 4                          ; grouped_gemm.py:30:4
	s_endpgm
.Ltmp15:
	.section	.rodata,"a",@progbits
	.p2align	6, 0x0
	.amdhsa_kernel grouped_matmul_kernel
		.amdhsa_group_segment_fixed_size 0
		.amdhsa_private_segment_fixed_size 0
		.amdhsa_kernarg_size 64
		.amdhsa_user_sgpr_count 16
		.amdhsa_user_sgpr_dispatch_ptr 0
		.amdhsa_user_sgpr_queue_ptr 0
		.amdhsa_user_sgpr_kernarg_segment_ptr 1
		.amdhsa_user_sgpr_dispatch_id 0
		.amdhsa_user_sgpr_kernarg_preload_length 14
		.amdhsa_user_sgpr_kernarg_preload_offset 0
		.amdhsa_user_sgpr_private_segment_size 0
		.amdhsa_uses_dynamic_stack 0
		.amdhsa_enable_private_segment 0
		.amdhsa_system_sgpr_workgroup_id_x 1
		.amdhsa_system_sgpr_workgroup_id_y 0
		.amdhsa_system_sgpr_workgroup_id_z 0
		.amdhsa_system_sgpr_workgroup_info 0
		.amdhsa_system_vgpr_workitem_id 0
		.amdhsa_next_free_vgpr 84
		.amdhsa_next_free_sgpr 43
		.amdhsa_accum_offset 84
		.amdhsa_reserve_vcc 1
		.amdhsa_reserve_xnack_mask 1
		.amdhsa_float_round_mode_32 0
		.amdhsa_float_round_mode_16_64 0
		.amdhsa_float_denorm_mode_32 3
		.amdhsa_float_denorm_mode_16_64 3
		.amdhsa_dx10_clamp 1
		.amdhsa_ieee_mode 1
		.amdhsa_fp16_overflow 0
		.amdhsa_tg_split 0
		.amdhsa_exception_fp_ieee_invalid_op 0
		.amdhsa_exception_fp_denorm_src 0
		.amdhsa_exception_fp_ieee_div_zero 0
		.amdhsa_exception_fp_ieee_overflow 0
		.amdhsa_exception_fp_ieee_underflow 0
		.amdhsa_exception_fp_ieee_inexact 0
		.amdhsa_exception_int_div_zero 0
	.end_amdhsa_kernel
	.text
.Lfunc_end0:
	.size	grouped_matmul_kernel, .Lfunc_end0-grouped_matmul_kernel
	.cfi_endproc
                                        ; -- End function
	.set grouped_matmul_kernel.num_vgpr, 84
	.set grouped_matmul_kernel.num_agpr, 0
	.set grouped_matmul_kernel.numbered_sgpr, 43
	.set grouped_matmul_kernel.num_named_barrier, 0
	.set grouped_matmul_kernel.private_seg_size, 0
	.set grouped_matmul_kernel.uses_vcc, 1
	.set grouped_matmul_kernel.uses_flat_scratch, 0
	.set grouped_matmul_kernel.has_dyn_sized_stack, 0
	.set grouped_matmul_kernel.has_recursion, 0
	.set grouped_matmul_kernel.has_indirect_call, 0
	.section	.AMDGPU.csdata,"",@progbits
; Kernel info:
; codeLenInByte = 2248
; TotalNumSgprs: 49
; NumVgprs: 84
; NumAgprs: 0
; TotalNumVgprs: 84
; ScratchSize: 0
; MemoryBound: 1
; FloatMode: 240
; IeeeMode: 1
; LDSByteSize: 0 bytes/workgroup (compile time only)
; SGPRBlocks: 6
; VGPRBlocks: 10
; NumSGPRsForWavesPerEU: 49
; NumVGPRsForWavesPerEU: 84
; AccumOffset: 84
; Occupancy: 5
; WaveLimiterHint : 1
; COMPUTE_PGM_RSRC2:SCRATCH_EN: 0
; COMPUTE_PGM_RSRC2:USER_SGPR: 16
; COMPUTE_PGM_RSRC2:TRAP_HANDLER: 0
; COMPUTE_PGM_RSRC2:TGID_X_EN: 1
; COMPUTE_PGM_RSRC2:TGID_Y_EN: 0
; COMPUTE_PGM_RSRC2:TGID_Z_EN: 0
; COMPUTE_PGM_RSRC2:TIDIG_COMP_CNT: 0
; COMPUTE_PGM_RSRC3_GFX90A:ACCUM_OFFSET: 20
; COMPUTE_PGM_RSRC3_GFX90A:TG_SPLIT: 0
	.text
	.p2alignl 6, 3212836864
	.fill 256, 4, 3212836864
	.section	.AMDGPU.gpr_maximums,"",@progbits
	.set amdgpu.max_num_vgpr, 0
	.set amdgpu.max_num_agpr, 0
	.set amdgpu.max_num_sgpr, 0
	.set amdgpu.max_num_named_barrier, 0
	.text
	.section	.debug_abbrev,"",@progbits
	.byte	1                               ; Abbreviation Code
	.byte	17                              ; DW_TAG_compile_unit
	.byte	1                               ; DW_CHILDREN_yes
	.byte	37                              ; DW_AT_producer
	.byte	14                              ; DW_FORM_strp
	.byte	19                              ; DW_AT_language
	.byte	5                               ; DW_FORM_data2
	.byte	3                               ; DW_AT_name
	.byte	14                              ; DW_FORM_strp
	.byte	16                              ; DW_AT_stmt_list
	.byte	23                              ; DW_FORM_sec_offset
	.byte	27                              ; DW_AT_comp_dir
	.byte	14                              ; DW_FORM_strp
	.byte	17                              ; DW_AT_low_pc
	.byte	1                               ; DW_FORM_addr
	.byte	18                              ; DW_AT_high_pc
	.byte	6                               ; DW_FORM_data4
	.byte	0                               ; EOM(1)
	.byte	0                               ; EOM(2)
	.byte	2                               ; Abbreviation Code
	.byte	46                              ; DW_TAG_subprogram
	.byte	0                               ; DW_CHILDREN_no
	.byte	3                               ; DW_AT_name
	.byte	14                              ; DW_FORM_strp
	.byte	32                              ; DW_AT_inline
	.byte	11                              ; DW_FORM_data1
	.byte	0                               ; EOM(1)
	.byte	0                               ; EOM(2)
	.byte	3                               ; Abbreviation Code
	.byte	46                              ; DW_TAG_subprogram
	.byte	1                               ; DW_CHILDREN_yes
	.byte	17                              ; DW_AT_low_pc
	.byte	1                               ; DW_FORM_addr
	.byte	18                              ; DW_AT_high_pc
	.byte	6                               ; DW_FORM_data4
	.byte	49                              ; DW_AT_abstract_origin
	.byte	19                              ; DW_FORM_ref4
	.byte	0                               ; EOM(1)
	.byte	0                               ; EOM(2)
	.byte	4                               ; Abbreviation Code
	.byte	29                              ; DW_TAG_inlined_subroutine
	.byte	0                               ; DW_CHILDREN_no
	.byte	49                              ; DW_AT_abstract_origin
	.byte	19                              ; DW_FORM_ref4
	.byte	85                              ; DW_AT_ranges
	.byte	23                              ; DW_FORM_sec_offset
	.byte	88                              ; DW_AT_call_file
	.byte	11                              ; DW_FORM_data1
	.byte	89                              ; DW_AT_call_line
	.byte	11                              ; DW_FORM_data1
	.byte	87                              ; DW_AT_call_column
	.byte	11                              ; DW_FORM_data1
	.byte	0                               ; EOM(1)
	.byte	0                               ; EOM(2)
	.byte	5                               ; Abbreviation Code
	.byte	29                              ; DW_TAG_inlined_subroutine
	.byte	0                               ; DW_CHILDREN_no
	.byte	49                              ; DW_AT_abstract_origin
	.byte	19                              ; DW_FORM_ref4
	.byte	17                              ; DW_AT_low_pc
	.byte	1                               ; DW_FORM_addr
	.byte	18                              ; DW_AT_high_pc
	.byte	6                               ; DW_FORM_data4
	.byte	88                              ; DW_AT_call_file
	.byte	11                              ; DW_FORM_data1
	.byte	89                              ; DW_AT_call_line
	.byte	11                              ; DW_FORM_data1
	.byte	87                              ; DW_AT_call_column
	.byte	11                              ; DW_FORM_data1
	.byte	0                               ; EOM(1)
	.byte	0                               ; EOM(2)
	;; [unrolled: 1-line block ×3, first 2 shown]
	.section	.debug_info,"",@progbits
.Lcu_begin0:
	.long	.Ldebug_info_end0-.Ldebug_info_start0 ; Length of Unit
.Ldebug_info_start0:
	.short	4                               ; DWARF version number
	.long	.debug_abbrev                   ; Offset Into Abbrev. Section
	.byte	8                               ; Address Size (in bytes)
	.byte	1                               ; Abbrev [1] 0xb:0x64 DW_TAG_compile_unit
	.long	.Linfo_string0                  ; DW_AT_producer
	.short	2                               ; DW_AT_language
	.long	.Linfo_string1                  ; DW_AT_name
	.long	.Lline_table_start0             ; DW_AT_stmt_list
	.long	.Linfo_string2                  ; DW_AT_comp_dir
	.quad	.Lfunc_begin0                   ; DW_AT_low_pc
	.long	.Lfunc_end0-.Lfunc_begin0       ; DW_AT_high_pc
	.byte	2                               ; Abbrev [2] 0x2a:0x6 DW_TAG_subprogram
	.long	.Linfo_string3                  ; DW_AT_name
	.byte	1                               ; DW_AT_inline
	.byte	3                               ; Abbrev [3] 0x30:0x3e DW_TAG_subprogram
	.quad	.Lfunc_begin0                   ; DW_AT_low_pc
	.long	.Lfunc_end0-.Lfunc_begin0       ; DW_AT_high_pc
	.long	42                              ; DW_AT_abstract_origin
	.byte	4                               ; Abbrev [4] 0x41:0xc DW_TAG_inlined_subroutine
	.long	42                              ; DW_AT_abstract_origin
	.long	.Ldebug_ranges0                 ; DW_AT_ranges
	.byte	1                               ; DW_AT_call_file
	.byte	35                              ; DW_AT_call_line
	.byte	34                              ; DW_AT_call_column
	.byte	4                               ; Abbrev [4] 0x4d:0xc DW_TAG_inlined_subroutine
	.long	42                              ; DW_AT_abstract_origin
	.long	.Ldebug_ranges1                 ; DW_AT_ranges
	.byte	1                               ; DW_AT_call_file
	.byte	36                              ; DW_AT_call_line
	.byte	34                              ; DW_AT_call_column
	.byte	5                               ; Abbrev [5] 0x59:0x14 DW_TAG_inlined_subroutine
	.long	42                              ; DW_AT_abstract_origin
	.quad	.Ltmp13                         ; DW_AT_low_pc
	.long	.Ltmp14-.Ltmp13                 ; DW_AT_high_pc
	.byte	1                               ; DW_AT_call_file
	.byte	60                              ; DW_AT_call_line
	.byte	42                              ; DW_AT_call_column
	.byte	0                               ; End Of Children Mark
	.byte	0                               ; End Of Children Mark
.Ldebug_info_end0:
	.section	.debug_ranges,"",@progbits
.Ldebug_ranges0:
	.quad	.Ltmp2-.Lfunc_begin0
	.quad	.Ltmp3-.Lfunc_begin0
	;; [unrolled: 1-line block ×10, first 2 shown]
	.quad	0
	.quad	0
.Ldebug_ranges1:
	.quad	.Ltmp3-.Lfunc_begin0
	.quad	.Ltmp4-.Lfunc_begin0
	;; [unrolled: 1-line block ×10, first 2 shown]
	.quad	0
	.quad	0
	.section	.debug_str,"MS",@progbits,1
.Linfo_string0:
	.asciz	"triton"                        ; string offset=0
.Linfo_string1:
	.asciz	"grouped_gemm.py"               ; string offset=7
.Linfo_string2:
	.asciz	"/root/src/amdgpu-assembly/repos/triton-lang__triton-aot" ; string offset=23
.Linfo_string3:
	.asciz	"grouped_matmul_kernel"         ; string offset=79
	.section	".note.GNU-stack","",@progbits
	.amdgpu_metadata
---
amdhsa.kernels:
  - .agpr_count:     0
    .args:
      - .address_space:  global
        .offset:         0
        .size:           8
        .value_kind:     global_buffer
      - .address_space:  global
        .offset:         8
        .size:           8
        .value_kind:     global_buffer
      - .address_space:  global
        .offset:         16
        .size:           8
        .value_kind:     global_buffer
      - .address_space:  global
        .offset:         24
        .size:           8
        .value_kind:     global_buffer
      - .address_space:  global
        .offset:         32
        .size:           8
        .value_kind:     global_buffer
      - .offset:         40
        .size:           4
        .value_kind:     by_value
      - .address_space:  global
        .offset:         48
        .size:           8
        .value_kind:     global_buffer
      - .address_space:  global
        .offset:         56
        .size:           8
        .value_kind:     global_buffer
    .group_segment_fixed_size: 0
    .kernarg_segment_align: 8
    .kernarg_segment_size: 64
    .max_flat_workgroup_size: 512
    .name:           grouped_matmul_kernel
    .private_segment_fixed_size: 0
    .sgpr_count:     49
    .sgpr_spill_count: 0
    .symbol:         grouped_matmul_kernel.kd
    .uniform_work_group_size: 1
    .uses_dynamic_stack: false
    .vgpr_count:     84
    .vgpr_spill_count: 0
    .wavefront_size: 64
amdhsa.target:   amdgcn-amd-amdhsa--gfx950
amdhsa.version:
  - 1
  - 2
...

	.end_amdgpu_metadata
	.section	.debug_line,"",@progbits
.Lline_table_start0:
